;; amdgpu-corpus repo=ROCm/rocFFT kind=compiled arch=gfx906 opt=O3
	.text
	.amdgcn_target "amdgcn-amd-amdhsa--gfx906"
	.amdhsa_code_object_version 6
	.protected	fft_rtc_back_len416_factors_13_2_16_wgs_64_tpt_32_half_op_CI_CI_sbrr_dirReg ; -- Begin function fft_rtc_back_len416_factors_13_2_16_wgs_64_tpt_32_half_op_CI_CI_sbrr_dirReg
	.globl	fft_rtc_back_len416_factors_13_2_16_wgs_64_tpt_32_half_op_CI_CI_sbrr_dirReg
	.p2align	8
	.type	fft_rtc_back_len416_factors_13_2_16_wgs_64_tpt_32_half_op_CI_CI_sbrr_dirReg,@function
fft_rtc_back_len416_factors_13_2_16_wgs_64_tpt_32_half_op_CI_CI_sbrr_dirReg: ; @fft_rtc_back_len416_factors_13_2_16_wgs_64_tpt_32_half_op_CI_CI_sbrr_dirReg
; %bb.0:
	s_load_dwordx4 s[16:19], s[4:5], 0x18
	s_load_dwordx4 s[12:15], s[4:5], 0x0
	;; [unrolled: 1-line block ×3, first 2 shown]
	v_lshrrev_b32_e32 v1, 5, v0
	v_mov_b32_e32 v7, 0
	s_waitcnt lgkmcnt(0)
	s_load_dwordx2 s[22:23], s[16:17], 0x0
	s_load_dwordx2 s[20:21], s[18:19], 0x0
	v_cmp_lt_u64_e64 s[0:1], s[14:15], 2
	v_mov_b32_e32 v5, 0
	v_lshl_or_b32 v9, s6, 1, v1
	v_mov_b32_e32 v10, v7
	s_and_b64 vcc, exec, s[0:1]
	v_mov_b32_e32 v6, 0
	s_cbranch_vccnz .LBB0_8
; %bb.1:
	s_load_dwordx2 s[0:1], s[4:5], 0x10
	s_add_u32 s2, s18, 8
	s_addc_u32 s3, s19, 0
	s_add_u32 s6, s16, 8
	s_addc_u32 s7, s17, 0
	v_mov_b32_e32 v5, 0
	s_waitcnt lgkmcnt(0)
	s_add_u32 s24, s0, 8
	v_mov_b32_e32 v6, 0
	v_mov_b32_e32 v1, v5
	s_addc_u32 s25, s1, 0
	s_mov_b64 s[26:27], 1
	v_mov_b32_e32 v2, v6
.LBB0_2:                                ; =>This Inner Loop Header: Depth=1
	s_load_dwordx2 s[28:29], s[24:25], 0x0
                                        ; implicit-def: $vgpr3_vgpr4
	s_waitcnt lgkmcnt(0)
	v_or_b32_e32 v8, s29, v10
	v_cmp_ne_u64_e32 vcc, 0, v[7:8]
	s_and_saveexec_b64 s[0:1], vcc
	s_xor_b64 s[30:31], exec, s[0:1]
	s_cbranch_execz .LBB0_4
; %bb.3:                                ;   in Loop: Header=BB0_2 Depth=1
	v_cvt_f32_u32_e32 v3, s28
	v_cvt_f32_u32_e32 v4, s29
	s_sub_u32 s0, 0, s28
	s_subb_u32 s1, 0, s29
	v_mac_f32_e32 v3, 0x4f800000, v4
	v_rcp_f32_e32 v3, v3
	v_mul_f32_e32 v3, 0x5f7ffffc, v3
	v_mul_f32_e32 v4, 0x2f800000, v3
	v_trunc_f32_e32 v4, v4
	v_mac_f32_e32 v3, 0xcf800000, v4
	v_cvt_u32_f32_e32 v4, v4
	v_cvt_u32_f32_e32 v3, v3
	v_mul_lo_u32 v8, s0, v4
	v_mul_hi_u32 v11, s0, v3
	v_mul_lo_u32 v13, s1, v3
	v_mul_lo_u32 v12, s0, v3
	v_add_u32_e32 v8, v11, v8
	v_add_u32_e32 v8, v8, v13
	v_mul_hi_u32 v11, v3, v12
	v_mul_lo_u32 v13, v3, v8
	v_mul_hi_u32 v15, v3, v8
	v_mul_hi_u32 v14, v4, v12
	v_mul_lo_u32 v12, v4, v12
	v_mul_hi_u32 v16, v4, v8
	v_add_co_u32_e32 v11, vcc, v11, v13
	v_addc_co_u32_e32 v13, vcc, 0, v15, vcc
	v_mul_lo_u32 v8, v4, v8
	v_add_co_u32_e32 v11, vcc, v11, v12
	v_addc_co_u32_e32 v11, vcc, v13, v14, vcc
	v_addc_co_u32_e32 v12, vcc, 0, v16, vcc
	v_add_co_u32_e32 v8, vcc, v11, v8
	v_addc_co_u32_e32 v11, vcc, 0, v12, vcc
	v_add_co_u32_e32 v3, vcc, v3, v8
	v_addc_co_u32_e32 v4, vcc, v4, v11, vcc
	v_mul_lo_u32 v8, s0, v4
	v_mul_hi_u32 v11, s0, v3
	v_mul_lo_u32 v12, s1, v3
	v_mul_lo_u32 v13, s0, v3
	v_add_u32_e32 v8, v11, v8
	v_add_u32_e32 v8, v8, v12
	v_mul_lo_u32 v14, v3, v8
	v_mul_hi_u32 v15, v3, v13
	v_mul_hi_u32 v16, v3, v8
	;; [unrolled: 1-line block ×3, first 2 shown]
	v_mul_lo_u32 v13, v4, v13
	v_mul_hi_u32 v11, v4, v8
	v_add_co_u32_e32 v14, vcc, v15, v14
	v_addc_co_u32_e32 v15, vcc, 0, v16, vcc
	v_mul_lo_u32 v8, v4, v8
	v_add_co_u32_e32 v13, vcc, v14, v13
	v_addc_co_u32_e32 v12, vcc, v15, v12, vcc
	v_addc_co_u32_e32 v11, vcc, 0, v11, vcc
	v_add_co_u32_e32 v8, vcc, v12, v8
	v_addc_co_u32_e32 v11, vcc, 0, v11, vcc
	v_add_co_u32_e32 v8, vcc, v3, v8
	v_addc_co_u32_e32 v11, vcc, v4, v11, vcc
	v_mad_u64_u32 v[3:4], s[0:1], v9, v11, 0
	v_mul_hi_u32 v12, v9, v8
	v_add_co_u32_e32 v13, vcc, v12, v3
	v_addc_co_u32_e32 v14, vcc, 0, v4, vcc
	v_mad_u64_u32 v[3:4], s[0:1], v10, v8, 0
	v_mad_u64_u32 v[11:12], s[0:1], v10, v11, 0
	v_add_co_u32_e32 v3, vcc, v13, v3
	v_addc_co_u32_e32 v3, vcc, v14, v4, vcc
	v_addc_co_u32_e32 v4, vcc, 0, v12, vcc
	v_add_co_u32_e32 v8, vcc, v3, v11
	v_addc_co_u32_e32 v11, vcc, 0, v4, vcc
	v_mul_lo_u32 v12, s29, v8
	v_mul_lo_u32 v13, s28, v11
	v_mad_u64_u32 v[3:4], s[0:1], s28, v8, 0
	v_add3_u32 v4, v4, v13, v12
	v_sub_u32_e32 v12, v10, v4
	v_mov_b32_e32 v13, s29
	v_sub_co_u32_e32 v3, vcc, v9, v3
	v_subb_co_u32_e64 v12, s[0:1], v12, v13, vcc
	v_subrev_co_u32_e64 v13, s[0:1], s28, v3
	v_subbrev_co_u32_e64 v12, s[0:1], 0, v12, s[0:1]
	v_cmp_le_u32_e64 s[0:1], s29, v12
	v_cndmask_b32_e64 v14, 0, -1, s[0:1]
	v_cmp_le_u32_e64 s[0:1], s28, v13
	v_cndmask_b32_e64 v13, 0, -1, s[0:1]
	v_cmp_eq_u32_e64 s[0:1], s29, v12
	v_cndmask_b32_e64 v12, v14, v13, s[0:1]
	v_add_co_u32_e64 v13, s[0:1], 2, v8
	v_addc_co_u32_e64 v14, s[0:1], 0, v11, s[0:1]
	v_add_co_u32_e64 v15, s[0:1], 1, v8
	v_addc_co_u32_e64 v16, s[0:1], 0, v11, s[0:1]
	v_subb_co_u32_e32 v4, vcc, v10, v4, vcc
	v_cmp_ne_u32_e64 s[0:1], 0, v12
	v_cmp_le_u32_e32 vcc, s29, v4
	v_cndmask_b32_e64 v12, v16, v14, s[0:1]
	v_cndmask_b32_e64 v14, 0, -1, vcc
	v_cmp_le_u32_e32 vcc, s28, v3
	v_cndmask_b32_e64 v3, 0, -1, vcc
	v_cmp_eq_u32_e32 vcc, s29, v4
	v_cndmask_b32_e32 v3, v14, v3, vcc
	v_cmp_ne_u32_e32 vcc, 0, v3
	v_cndmask_b32_e64 v3, v15, v13, s[0:1]
	v_cndmask_b32_e32 v4, v11, v12, vcc
	v_cndmask_b32_e32 v3, v8, v3, vcc
.LBB0_4:                                ;   in Loop: Header=BB0_2 Depth=1
	s_andn2_saveexec_b64 s[0:1], s[30:31]
	s_cbranch_execz .LBB0_6
; %bb.5:                                ;   in Loop: Header=BB0_2 Depth=1
	v_cvt_f32_u32_e32 v3, s28
	s_sub_i32 s30, 0, s28
	v_rcp_iflag_f32_e32 v3, v3
	v_mul_f32_e32 v3, 0x4f7ffffe, v3
	v_cvt_u32_f32_e32 v3, v3
	v_mul_lo_u32 v4, s30, v3
	v_mul_hi_u32 v4, v3, v4
	v_add_u32_e32 v3, v3, v4
	v_mul_hi_u32 v3, v9, v3
	v_mul_lo_u32 v4, v3, s28
	v_add_u32_e32 v8, 1, v3
	v_sub_u32_e32 v4, v9, v4
	v_subrev_u32_e32 v11, s28, v4
	v_cmp_le_u32_e32 vcc, s28, v4
	v_cndmask_b32_e32 v4, v4, v11, vcc
	v_cndmask_b32_e32 v3, v3, v8, vcc
	v_add_u32_e32 v8, 1, v3
	v_cmp_le_u32_e32 vcc, s28, v4
	v_cndmask_b32_e32 v3, v3, v8, vcc
	v_mov_b32_e32 v4, v7
.LBB0_6:                                ;   in Loop: Header=BB0_2 Depth=1
	s_or_b64 exec, exec, s[0:1]
	v_mul_lo_u32 v8, v4, s28
	v_mul_lo_u32 v13, v3, s29
	v_mad_u64_u32 v[11:12], s[0:1], v3, s28, 0
	s_load_dwordx2 s[0:1], s[6:7], 0x0
	s_load_dwordx2 s[28:29], s[2:3], 0x0
	v_add3_u32 v8, v12, v13, v8
	v_sub_co_u32_e32 v9, vcc, v9, v11
	v_subb_co_u32_e32 v8, vcc, v10, v8, vcc
	s_waitcnt lgkmcnt(0)
	v_mul_lo_u32 v10, s0, v8
	v_mul_lo_u32 v11, s1, v9
	v_mad_u64_u32 v[5:6], s[0:1], s0, v9, v[5:6]
	v_mul_lo_u32 v8, s28, v8
	v_mul_lo_u32 v12, s29, v9
	v_mad_u64_u32 v[1:2], s[0:1], s28, v9, v[1:2]
	s_add_u32 s26, s26, 1
	s_addc_u32 s27, s27, 0
	s_add_u32 s2, s2, 8
	v_add3_u32 v2, v12, v2, v8
	s_addc_u32 s3, s3, 0
	v_mov_b32_e32 v8, s14
	s_add_u32 s6, s6, 8
	v_mov_b32_e32 v9, s15
	s_addc_u32 s7, s7, 0
	v_cmp_ge_u64_e32 vcc, s[26:27], v[8:9]
	s_add_u32 s24, s24, 8
	v_add3_u32 v6, v11, v6, v10
	s_addc_u32 s25, s25, 0
	s_cbranch_vccnz .LBB0_9
; %bb.7:                                ;   in Loop: Header=BB0_2 Depth=1
	v_mov_b32_e32 v10, v4
	v_mov_b32_e32 v9, v3
	s_branch .LBB0_2
.LBB0_8:
	v_mov_b32_e32 v1, v5
	v_mov_b32_e32 v3, v9
	;; [unrolled: 1-line block ×4, first 2 shown]
.LBB0_9:
	s_load_dwordx2 s[0:1], s[4:5], 0x28
	s_lshl_b64 s[6:7], s[14:15], 3
	s_add_u32 s2, s18, s6
	s_addc_u32 s3, s19, s7
	v_and_b32_e32 v19, 31, v0
	s_waitcnt lgkmcnt(0)
	v_cmp_gt_u64_e32 vcc, s[0:1], v[3:4]
	v_cmp_le_u64_e64 s[0:1], s[0:1], v[3:4]
                                        ; implicit-def: $sgpr14
                                        ; implicit-def: $vgpr12
                                        ; implicit-def: $vgpr13
                                        ; implicit-def: $vgpr14
                                        ; implicit-def: $vgpr15
                                        ; implicit-def: $vgpr16
                                        ; implicit-def: $vgpr17
	s_and_saveexec_b64 s[4:5], s[0:1]
	s_xor_b64 s[0:1], exec, s[4:5]
; %bb.10:
	v_and_b32_e32 v19, 31, v0
	v_or_b32_e32 v12, 32, v19
	v_or_b32_e32 v13, 64, v19
	;; [unrolled: 1-line block ×6, first 2 shown]
	s_mov_b32 s14, 0
                                        ; implicit-def: $vgpr5_vgpr6
; %bb.11:
	s_or_saveexec_b64 s[4:5], s[0:1]
	v_mov_b32_e32 v7, s14
                                        ; implicit-def: $vgpr8
                                        ; implicit-def: $vgpr9
                                        ; implicit-def: $vgpr10
                                        ; implicit-def: $vgpr11
                                        ; implicit-def: $vgpr18
                                        ; implicit-def: $vgpr20
                                        ; implicit-def: $vgpr21
                                        ; implicit-def: $vgpr22
                                        ; implicit-def: $vgpr23
                                        ; implicit-def: $vgpr24
                                        ; implicit-def: $vgpr25
                                        ; implicit-def: $vgpr26
	s_xor_b64 exec, exec, s[4:5]
	s_cbranch_execz .LBB0_13
; %bb.12:
	s_add_u32 s0, s16, s6
	s_addc_u32 s1, s17, s7
	s_load_dwordx2 s[0:1], s[0:1], 0x0
	v_mad_u64_u32 v[7:8], s[6:7], s22, v19, 0
	v_lshlrev_b64 v[5:6], 2, v[5:6]
	s_waitcnt lgkmcnt(0)
	v_mul_lo_u32 v13, s1, v3
	v_mul_lo_u32 v14, s0, v4
	v_mad_u64_u32 v[9:10], s[0:1], s0, v3, 0
	v_mad_u64_u32 v[11:12], s[0:1], s23, v19, v[8:9]
	v_add3_u32 v10, v10, v14, v13
	v_lshlrev_b64 v[9:10], 2, v[9:10]
	v_mov_b32_e32 v8, v11
	v_mov_b32_e32 v11, s9
	v_add_co_u32_e64 v13, s[0:1], s8, v9
	v_or_b32_e32 v12, 32, v19
	v_addc_co_u32_e64 v11, s[0:1], v11, v10, s[0:1]
	v_mad_u64_u32 v[9:10], s[0:1], s22, v12, 0
	v_add_co_u32_e64 v23, s[0:1], v13, v5
	v_addc_co_u32_e64 v24, s[0:1], v11, v6, s[0:1]
	v_lshlrev_b64 v[5:6], 2, v[7:8]
	v_mov_b32_e32 v7, v10
	v_mad_u64_u32 v[7:8], s[0:1], s23, v12, v[7:8]
	v_or_b32_e32 v13, 64, v19
	v_mad_u64_u32 v[15:16], s[0:1], s22, v13, 0
	v_mov_b32_e32 v10, v7
	v_add_co_u32_e64 v5, s[0:1], v23, v5
	v_lshlrev_b64 v[7:8], 2, v[9:10]
	v_mov_b32_e32 v9, v16
	v_addc_co_u32_e64 v6, s[0:1], v24, v6, s[0:1]
	v_mad_u64_u32 v[9:10], s[0:1], s23, v13, v[9:10]
	v_or_b32_e32 v14, 0x60, v19
	v_mad_u64_u32 v[10:11], s[0:1], s22, v14, 0
	v_add_co_u32_e64 v27, s[0:1], v23, v7
	v_mov_b32_e32 v16, v9
	v_mov_b32_e32 v9, v11
	v_addc_co_u32_e64 v28, s[0:1], v24, v8, s[0:1]
	v_lshlrev_b64 v[7:8], 2, v[15:16]
	v_mad_u64_u32 v[16:17], s[0:1], s23, v14, v[9:10]
	v_or_b32_e32 v15, 0x80, v19
	v_mad_u64_u32 v[17:18], s[0:1], s22, v15, 0
	v_add_co_u32_e64 v29, s[0:1], v23, v7
	v_mov_b32_e32 v11, v16
	v_mov_b32_e32 v9, v18
	v_addc_co_u32_e64 v30, s[0:1], v24, v8, s[0:1]
	v_lshlrev_b64 v[7:8], 2, v[10:11]
	;; [unrolled: 8-line block ×10, first 2 shown]
	v_mad_u64_u32 v[9:10], s[0:1], s23, v18, v[9:10]
	v_add_co_u32_e64 v47, s[0:1], v23, v7
	v_mov_b32_e32 v22, v9
	v_addc_co_u32_e64 v48, s[0:1], v24, v8, s[0:1]
	v_lshlrev_b64 v[7:8], 2, v[21:22]
	v_add_co_u32_e64 v49, s[0:1], v23, v7
	v_addc_co_u32_e64 v50, s[0:1], v24, v8, s[0:1]
	global_load_dword v7, v[5:6], off
	global_load_dword v25, v[27:28], off
	;; [unrolled: 1-line block ×13, first 2 shown]
.LBB0_13:
	s_or_b64 exec, exec, s[4:5]
	s_waitcnt vmcnt(0)
	v_pk_add_f16 v5, v25, v26
	v_pk_add_f16 v6, v25, v26 neg_lo:[0,1] neg_hi:[0,1]
	s_movk_i32 s8, 0x3b15
	v_lshrrev_b32_e32 v27, 16, v5
	v_mul_f16_e32 v28, 0xb770, v6
	s_movk_i32 s7, 0x388b
	v_mul_f16_e32 v30, 0xba95, v6
	s_movk_i32 s6, 0x2fb7
	v_mul_f16_e32 v32, 0xbbf1, v6
	s_mov_b32 s9, 0xb5ac
	v_mul_f16_e32 v34, 0xbb7b, v6
	s_mov_b32 s14, 0xb9fd
	v_mul_f16_e32 v36, 0xb94e, v6
	v_fma_f16 v29, v27, s8, -v28
	v_fma_f16 v28, v27, s8, v28
	v_fma_f16 v31, v27, s7, -v30
	v_fma_f16 v30, v27, s7, v30
	v_fma_f16 v33, v27, s6, -v32
	v_fma_f16 v32, v27, s6, v32
	v_fma_f16 v35, v27, s9, -v34
	v_fma_f16 v34, v27, s9, v34
	v_fma_f16 v37, v27, s14, -v36
	v_fma_f16 v27, v27, s14, v36
	v_pk_add_f16 v36, v23, v24
	v_pk_add_f16 v38, v23, v24 neg_lo:[0,1] neg_hi:[0,1]
	v_lshrrev_b32_e32 v39, 16, v36
	v_mul_f16_e32 v40, 0xba95, v38
	v_mul_f16_e32 v42, 0xbb7b, v38
	s_mov_b32 s15, 0xbbc4
	v_mul_f16_e32 v44, 0xb3a8, v38
	v_mul_f16_e32 v46, 0x394e, v38
	v_mul_f16_e32 v48, 0x3bf1, v38
	v_fma_f16 v41, v39, s7, -v40
	v_fma_f16 v40, v39, s7, v40
	v_fma_f16 v43, v39, s9, -v42
	v_fma_f16 v42, v39, s9, v42
	;; [unrolled: 2-line block ×5, first 2 shown]
	v_pk_add_f16 v48, v21, v22
	v_pk_add_f16 v50, v21, v22 neg_lo:[0,1] neg_hi:[0,1]
	v_lshrrev_b32_e32 v51, 16, v48
	v_mul_f16_e32 v52, 0xbbf1, v50
	v_mul_f16_e32 v54, 0xb3a8, v50
	v_mul_f16_e32 v56, 0x3b7b, v50
	v_mul_f16_e32 v58, 0x3770, v50
	v_mul_f16_e32 v60, 0xba95, v50
	v_pk_add_f16 v25, v25, v7
	v_fma_f16 v53, v51, s6, -v52
	v_fma_f16 v52, v51, s6, v52
	v_fma_f16 v55, v51, s15, -v54
	v_fma_f16 v54, v51, s15, v54
	v_fma_f16 v57, v51, s9, -v56
	v_fma_f16 v56, v51, s9, v56
	v_fma_f16 v59, v51, s8, -v58
	v_fma_f16 v58, v51, s8, v58
	v_fma_f16 v61, v51, s7, -v60
	v_fma_f16 v51, v51, s7, v60
	v_pk_add_f16 v60, v18, v20
	v_pk_add_f16 v62, v18, v20 neg_lo:[0,1] neg_hi:[0,1]
	v_pk_add_f16 v23, v23, v25
	v_lshrrev_b32_e32 v63, 16, v60
	v_mul_f16_e32 v64, 0xbb7b, v62
	v_mul_f16_e32 v66, 0x394e, v62
	v_mul_f16_e32 v68, 0x3770, v62
	v_mul_f16_e32 v70, 0xbbf1, v62
	v_mul_f16_e32 v72, 0x33a8, v62
	v_pk_add_f16 v21, v21, v23
	v_fma_f16 v65, v63, s9, -v64
	v_fma_f16 v64, v63, s9, v64
	v_fma_f16 v67, v63, s14, -v66
	v_fma_f16 v66, v63, s14, v66
	v_fma_f16 v69, v63, s8, -v68
	v_fma_f16 v68, v63, s8, v68
	v_fma_f16 v71, v63, s6, -v70
	v_fma_f16 v70, v63, s6, v70
	v_fma_f16 v73, v63, s15, -v72
	v_fma_f16 v63, v63, s15, v72
	v_pk_add_f16 v72, v10, v11
	v_pk_add_f16 v74, v10, v11 neg_lo:[0,1] neg_hi:[0,1]
	v_pk_add_f16 v18, v18, v21
	;; [unrolled: 20-line block ×3, first 2 shown]
	v_pk_add_f16 v8, v9, v8
	v_pk_add_f16 v8, v11, v8
	;; [unrolled: 1-line block ×3, first 2 shown]
	s_mov_b32 s0, 0xb770
	v_pk_add_f16 v8, v22, v8
	v_mul_f16_sdwa v9, v6, s0 dst_sel:DWORD dst_unused:UNUSED_PAD src0_sel:WORD_1 src1_sel:DWORD
	s_mov_b32 s0, 0xba95
	s_mov_b32 s1, 0xbbf1
	;; [unrolled: 1-line block ×5, first 2 shown]
	v_pk_add_f16 v8, v24, v8
	v_mul_f16_sdwa v11, v6, s0 dst_sel:DWORD dst_unused:UNUSED_PAD src0_sel:WORD_1 src1_sel:DWORD
	v_mul_f16_sdwa v20, v6, s1 dst_sel:DWORD dst_unused:UNUSED_PAD src0_sel:WORD_1 src1_sel:DWORD
	;; [unrolled: 1-line block ×4, first 2 shown]
	v_pk_mul_f16 v6, v6, s18 op_sel_hi:[1,0]
	v_pk_add_f16 v8, v26, v8
	v_fma_f16 v10, v5, s8, v9
	v_fma_f16 v9, v5, s8, -v9
	v_fma_f16 v18, v5, s7, v11
	v_fma_f16 v11, v5, s7, -v11
	v_fma_f16 v21, v5, s6, v20
	v_fma_f16 v20, v5, s6, -v20
	v_fma_f16 v23, v5, s9, v22
	v_fma_f16 v22, v5, s9, -v22
	v_fma_f16 v25, v5, s14, v24
	v_fma_f16 v24, v5, s14, -v24
	v_pk_fma_f16 v26, v5, s15, v6 op_sel:[0,0,1] op_sel_hi:[1,0,0]
	v_pk_fma_f16 v5, v5, s15, v6 op_sel:[0,0,1] op_sel_hi:[1,0,0] neg_lo:[0,0,1] neg_hi:[0,0,1]
	v_add_f16_e32 v6, v10, v7
	v_add_f16_sdwa v10, v29, v7 dst_sel:DWORD dst_unused:UNUSED_PAD src0_sel:DWORD src1_sel:WORD_1
	v_add_f16_e32 v9, v9, v7
	v_add_f16_sdwa v28, v28, v7 dst_sel:DWORD dst_unused:UNUSED_PAD src0_sel:DWORD src1_sel:WORD_1
	;; [unrolled: 2-line block ×10, first 2 shown]
	v_pk_add_f16 v26, v26, v7
	v_pk_add_f16 v5, v5, v7
	v_mul_f16_sdwa v7, v38, s0 dst_sel:DWORD dst_unused:UNUSED_PAD src0_sel:WORD_1 src1_sel:DWORD
	v_fma_f16 v37, v36, s7, v7
	v_fma_f16 v7, v36, s7, -v7
	v_add_f16_e32 v7, v7, v9
	v_add_f16_e32 v9, v40, v28
	v_mul_f16_sdwa v28, v38, s16 dst_sel:DWORD dst_unused:UNUSED_PAD src0_sel:WORD_1 src1_sel:DWORD
	v_add_f16_e32 v6, v37, v6
	v_fma_f16 v37, v36, s9, v28
	v_fma_f16 v28, v36, s9, -v28
	v_add_f16_e32 v11, v28, v11
	v_add_f16_e32 v28, v42, v30
	v_mul_f16_sdwa v30, v38, s18 dst_sel:DWORD dst_unused:UNUSED_PAD src0_sel:WORD_1 src1_sel:DWORD
	v_add_f16_e32 v18, v37, v18
	v_fma_f16 v37, v36, s15, v30
	v_fma_f16 v30, v36, s15, -v30
	s_movk_i32 s4, 0x394e
	v_add_f16_e32 v20, v30, v20
	v_add_f16_e32 v30, v44, v32
	v_mul_f16_sdwa v32, v38, s4 dst_sel:DWORD dst_unused:UNUSED_PAD src0_sel:WORD_1 src1_sel:DWORD
	v_add_f16_e32 v21, v37, v21
	v_fma_f16 v37, v36, s14, v32
	v_fma_f16 v32, v36, s14, -v32
	s_movk_i32 s19, 0x3bf1
	;; [unrolled: 7-line block ×3, first 2 shown]
	v_add_f16_e32 v24, v34, v24
	v_pk_mul_f16 v34, v38, s22 op_sel_hi:[1,0]
	v_add_f16_e32 v25, v37, v25
	v_pk_fma_f16 v37, v36, s8, v34 op_sel:[0,0,1] op_sel_hi:[1,0,0]
	v_pk_fma_f16 v34, v36, s8, v34 op_sel:[0,0,1] op_sel_hi:[1,0,0] neg_lo:[0,0,1] neg_hi:[0,0,1]
	v_pk_add_f16 v5, v34, v5
	v_mul_f16_sdwa v34, v50, s1 dst_sel:DWORD dst_unused:UNUSED_PAD src0_sel:WORD_1 src1_sel:DWORD
	v_fma_f16 v36, v48, s6, v34
	v_fma_f16 v34, v48, s6, -v34
	v_add_f16_e32 v7, v34, v7
	v_mul_f16_sdwa v34, v50, s18 dst_sel:DWORD dst_unused:UNUSED_PAD src0_sel:WORD_1 src1_sel:DWORD
	v_add_f16_e32 v6, v36, v6
	v_fma_f16 v36, v48, s15, v34
	v_fma_f16 v34, v48, s15, -v34
	s_movk_i32 s5, 0x3b7b
	v_add_f16_e32 v11, v34, v11
	v_mul_f16_sdwa v34, v50, s5 dst_sel:DWORD dst_unused:UNUSED_PAD src0_sel:WORD_1 src1_sel:DWORD
	v_add_f16_e32 v18, v36, v18
	v_fma_f16 v36, v48, s9, v34
	v_fma_f16 v34, v48, s9, -v34
	v_add_f16_e32 v20, v34, v20
	v_mul_f16_sdwa v34, v50, s22 dst_sel:DWORD dst_unused:UNUSED_PAD src0_sel:WORD_1 src1_sel:DWORD
	v_add_f16_e32 v21, v36, v21
	v_fma_f16 v36, v48, s8, v34
	v_fma_f16 v34, v48, s8, -v34
	v_add_f16_e32 v22, v34, v22
	v_mul_f16_sdwa v34, v50, s0 dst_sel:DWORD dst_unused:UNUSED_PAD src0_sel:WORD_1 src1_sel:DWORD
	v_add_f16_e32 v23, v36, v23
	v_fma_f16 v36, v48, s7, v34
	v_fma_f16 v34, v48, s7, -v34
	v_add_f16_e32 v24, v34, v24
	v_pk_mul_f16 v34, v50, s17 op_sel_hi:[1,0]
	v_add_f16_e32 v25, v36, v25
	v_pk_fma_f16 v36, v48, s14, v34 op_sel:[0,0,1] op_sel_hi:[1,0,0]
	v_pk_fma_f16 v34, v48, s14, v34 op_sel:[0,0,1] op_sel_hi:[1,0,0] neg_lo:[0,0,1] neg_hi:[0,0,1]
	v_pk_add_f16 v26, v37, v26
	v_pk_add_f16 v5, v34, v5
	v_mul_f16_sdwa v34, v62, s16 dst_sel:DWORD dst_unused:UNUSED_PAD src0_sel:WORD_1 src1_sel:DWORD
	v_pk_add_f16 v26, v36, v26
	v_fma_f16 v36, v60, s9, v34
	v_fma_f16 v34, v60, s9, -v34
	v_add_f16_e32 v7, v34, v7
	v_mul_f16_sdwa v34, v62, s4 dst_sel:DWORD dst_unused:UNUSED_PAD src0_sel:WORD_1 src1_sel:DWORD
	v_add_f16_e32 v6, v36, v6
	v_fma_f16 v36, v60, s14, v34
	v_fma_f16 v34, v60, s14, -v34
	v_add_f16_e32 v11, v34, v11
	v_mul_f16_sdwa v34, v62, s22 dst_sel:DWORD dst_unused:UNUSED_PAD src0_sel:WORD_1 src1_sel:DWORD
	v_add_f16_e32 v18, v36, v18
	;; [unrolled: 5-line block ×3, first 2 shown]
	v_fma_f16 v36, v60, s6, v34
	v_fma_f16 v34, v60, s6, -v34
	s_movk_i32 s1, 0x33a8
	v_add_f16_e32 v22, v34, v22
	v_mul_f16_sdwa v34, v62, s1 dst_sel:DWORD dst_unused:UNUSED_PAD src0_sel:WORD_1 src1_sel:DWORD
	v_add_f16_e32 v23, v36, v23
	v_fma_f16 v36, v60, s15, v34
	v_fma_f16 v34, v60, s15, -v34
	s_movk_i32 s23, 0x3a95
	v_add_f16_e32 v24, v34, v24
	v_pk_mul_f16 v34, v62, s23 op_sel_hi:[1,0]
	v_add_f16_e32 v25, v36, v25
	v_pk_fma_f16 v36, v60, s7, v34 op_sel:[0,0,1] op_sel_hi:[1,0,0]
	v_pk_fma_f16 v34, v60, s7, v34 op_sel:[0,0,1] op_sel_hi:[1,0,0] neg_lo:[0,0,1] neg_hi:[0,0,1]
	v_pk_add_f16 v5, v34, v5
	v_mul_f16_sdwa v34, v74, s17 dst_sel:DWORD dst_unused:UNUSED_PAD src0_sel:WORD_1 src1_sel:DWORD
	v_pk_add_f16 v26, v36, v26
	v_fma_f16 v36, v72, s14, v34
	v_fma_f16 v34, v72, s14, -v34
	v_add_f16_e32 v7, v34, v7
	v_mul_f16_sdwa v34, v74, s19 dst_sel:DWORD dst_unused:UNUSED_PAD src0_sel:WORD_1 src1_sel:DWORD
	v_add_f16_e32 v6, v36, v6
	v_fma_f16 v36, v72, s6, v34
	v_add_f16_e32 v36, v36, v18
	v_fma_f16 v18, v72, s6, -v34
	v_add_f16_e32 v11, v18, v11
	v_mul_f16_sdwa v18, v74, s0 dst_sel:DWORD dst_unused:UNUSED_PAD src0_sel:WORD_1 src1_sel:DWORD
	v_fma_f16 v34, v72, s7, v18
	v_fma_f16 v18, v72, s7, -v18
	v_add_f16_e32 v20, v18, v20
	v_mul_f16_sdwa v18, v74, s1 dst_sel:DWORD dst_unused:UNUSED_PAD src0_sel:WORD_1 src1_sel:DWORD
	v_add_f16_e32 v21, v34, v21
	v_fma_f16 v34, v72, s15, v18
	v_fma_f16 v18, v72, s15, -v18
	v_add_f16_e32 v35, v49, v35
	v_add_f16_e32 v22, v18, v22
	v_mul_f16_sdwa v18, v74, s22 dst_sel:DWORD dst_unused:UNUSED_PAD src0_sel:WORD_1 src1_sel:DWORD
	v_add_f16_e32 v35, v61, v35
	v_add_f16_e32 v23, v34, v23
	v_fma_f16 v34, v72, s8, v18
	v_fma_f16 v18, v72, s8, -v18
	v_add_f16_e32 v35, v73, v35
	v_add_f16_e32 v24, v18, v24
	v_pk_mul_f16 v18, v74, s16 op_sel_hi:[1,0]
	v_and_b32_e32 v0, 32, v0
	v_add_f16_e32 v25, v34, v25
	v_add_f16_e32 v34, v85, v35
	v_pk_fma_f16 v35, v72, s9, v18 op_sel:[0,0,1] op_sel_hi:[1,0,0]
	v_cmp_ne_u32_e64 s[0:1], 0, v0
	v_pk_fma_f16 v0, v72, s9, v18 op_sel:[0,0,1] op_sel_hi:[1,0,0] neg_lo:[0,0,1] neg_hi:[0,0,1]
	v_mul_f16_sdwa v18, v86, s18 dst_sel:DWORD dst_unused:UNUSED_PAD src0_sel:WORD_1 src1_sel:DWORD
	v_add_f16_e32 v10, v41, v10
	v_add_f16_e32 v29, v43, v29
	;; [unrolled: 1-line block ×3, first 2 shown]
	v_pk_add_f16 v5, v0, v5
	v_fma_f16 v0, v84, s15, v18
	v_lshrrev_b32_e32 v87, 16, v84
	v_mul_f16_e32 v88, 0xb3a8, v86
	v_add_f16_e32 v31, v45, v31
	v_add_f16_e32 v33, v47, v33
	;; [unrolled: 1-line block ×5, first 2 shown]
	v_fma_f16 v18, v84, s15, -v18
	v_add_f16_e32 v6, v0, v6
	v_mul_f16_sdwa v0, v86, s22 dst_sel:DWORD dst_unused:UNUSED_PAD src0_sel:WORD_1 src1_sel:DWORD
	v_fma_f16 v89, v87, s15, -v88
	v_fma_f16 v88, v87, s15, v88
	v_mul_f16_e32 v90, 0x3770, v86
	v_add_f16_e32 v31, v57, v31
	v_add_f16_e32 v30, v56, v30
	;; [unrolled: 1-line block ×6, first 2 shown]
	v_pk_add_f16 v26, v35, v26
	v_mov_b32_e32 v35, 0x1a0
	v_fma_f16 v37, v84, s8, v0
	v_fma_f16 v38, v84, s8, -v0
	v_add_f16_e32 v0, v18, v7
	v_mul_f16_sdwa v7, v86, s17 dst_sel:DWORD dst_unused:UNUSED_PAD src0_sel:WORD_1 src1_sel:DWORD
	v_fma_f16 v91, v87, s8, -v90
	v_mul_f16_e32 v92, 0xb94e, v86
	v_mul_f16_e32 v94, 0x3a95, v86
	;; [unrolled: 1-line block ×3, first 2 shown]
	v_add_f16_e32 v31, v69, v31
	v_add_f16_e32 v30, v68, v30
	v_add_f16_e32 v33, v71, v33
	v_add_f16_e32 v10, v77, v10
	v_add_f16_e32 v29, v79, v29
	v_cndmask_b32_e64 v35, 0, v35, s[0:1]
	v_add_f16_e32 v18, v88, v9
	v_fma_f16 v9, v84, s14, v7
	v_add_f16_e32 v36, v37, v36
	v_mul_f16_sdwa v37, v86, s23 dst_sel:DWORD dst_unused:UNUSED_PAD src0_sel:WORD_1 src1_sel:DWORD
	v_fma_f16 v93, v87, s14, -v92
	v_fma_f16 v92, v87, s14, v92
	v_fma_f16 v95, v87, s7, -v94
	v_fma_f16 v97, v87, s9, -v96
	v_add_f16_e32 v27, v39, v27
	v_add_f16_e32 v31, v81, v31
	;; [unrolled: 1-line block ×5, first 2 shown]
	v_fma_f16 v7, v84, s14, -v7
	v_add_f16_e32 v29, v91, v29
	v_fma_f16 v39, v84, s7, v37
	v_add_f16_e32 v11, v38, v11
	v_mul_f16_sdwa v38, v86, s16 dst_sel:DWORD dst_unused:UNUSED_PAD src0_sel:WORD_1 src1_sel:DWORD
	v_add_f16_e32 v9, v9, v21
	v_lshl_add_u32 v21, v35, 2, 0
	v_add_f16_e32 v32, v58, v32
	v_add_f16_e32 v27, v51, v27
	v_fma_f16 v37, v84, s7, -v37
	v_fma_f16 v40, v84, s9, v38
	v_add_f16_e32 v31, v93, v31
	v_mad_u32_u24 v41, v19, 52, v21
	v_add_f16_e32 v7, v7, v20
	v_add_f16_e32 v20, v92, v30
	v_add_f16_e32 v23, v39, v23
	v_add_f16_e32 v30, v95, v33
	v_add_f16_e32 v33, v97, v34
	v_pk_mul_f16 v34, v86, s19 op_sel_hi:[1,0]
	v_pack_b32_f16 v29, v36, v29
	v_pack_b32_f16 v6, v6, v10
	v_add_f16_e32 v28, v54, v28
	v_add_f16_e32 v32, v70, v32
	;; [unrolled: 1-line block ×5, first 2 shown]
	v_pk_fma_f16 v37, v84, s6, v34 op_sel:[0,0,1] op_sel_hi:[1,0,0]
	v_pk_fma_f16 v34, v84, s6, v34 op_sel:[0,0,1] op_sel_hi:[1,0,0] neg_lo:[0,0,1] neg_hi:[0,0,1]
	ds_write2_b32 v41, v6, v29 offset0:1 offset1:2
	v_pack_b32_f16 v6, v23, v30
	v_pack_b32_f16 v9, v9, v31
	v_fma_f16 v90, v87, s8, v90
	v_fma_f16 v94, v87, s7, v94
	;; [unrolled: 1-line block ×3, first 2 shown]
	v_add_f16_e32 v28, v66, v28
	v_add_f16_e32 v32, v82, v32
	;; [unrolled: 1-line block ×3, first 2 shown]
	v_fma_f16 v38, v84, s9, -v38
	v_pk_add_f16 v26, v37, v26
	v_pk_add_f16 v5, v34, v5
	ds_write2_b32 v41, v9, v6 offset0:3 offset1:4
	v_pack_b32_f16 v6, v25, v33
	s_mov_b32 s6, 0xffff
	v_add_f16_e32 v28, v78, v28
	v_add_f16_e32 v32, v94, v32
	;; [unrolled: 1-line block ×4, first 2 shown]
	ds_write2_b32 v41, v8, v6 offset1:5
	v_bfi_b32 v6, s6, v5, v26
	v_bfi_b32 v5, s6, v26, v5
	v_add_f16_e32 v28, v90, v28
	ds_write2_b32 v41, v5, v6 offset0:6 offset1:7
	v_pack_b32_f16 v5, v22, v32
	v_pack_b32_f16 v6, v24, v27
	s_movk_i32 s0, 0xffd0
	ds_write2_b32 v41, v6, v5 offset0:8 offset1:9
	v_pack_b32_f16 v5, v11, v28
	v_pack_b32_f16 v6, v7, v20
	v_mad_i32_i24 v22, v19, s0, v41
	ds_write2_b32 v41, v6, v5 offset0:10 offset1:11
	v_pack_b32_f16 v5, v0, v18
	v_lshl_add_u32 v23, v19, 2, v21
	v_add_u32_e32 v10, 0x400, v22
	v_lshl_add_u32 v29, v15, 2, v21
	s_load_dwordx2 s[4:5], s[2:3], 0x0
	ds_write_b32 v41, v5 offset:48
	s_waitcnt lgkmcnt(0)
	; wave barrier
	s_waitcnt lgkmcnt(0)
	ds_read2_b32 v[6:7], v22 offset0:208 offset1:240
	v_lshl_add_u32 v5, v12, 2, v21
	v_lshl_add_u32 v20, v13, 2, v21
	ds_read2_b32 v[8:9], v10 offset0:16 offset1:48
	v_lshl_add_u32 v24, v14, 2, v21
	ds_read2_b32 v[10:11], v10 offset0:80 offset1:112
	v_lshl_add_u32 v21, v16, 2, v21
	ds_read_b32 v27, v23
	ds_read_b32 v25, v5
	;; [unrolled: 1-line block ×6, first 2 shown]
	v_cmp_gt_u32_e64 s[0:1], 16, v19
	v_lshlrev_b32_e32 v24, 2, v35
                                        ; implicit-def: $vgpr20
                                        ; implicit-def: $vgpr5
	s_and_saveexec_b64 s[2:3], s[0:1]
	s_cbranch_execz .LBB0_15
; %bb.14:
	v_lshlrev_b32_e32 v0, 2, v17
	v_add3_u32 v0, 0, v0, v24
	ds_read_b32 v0, v0
	ds_read_b32 v5, v22 offset:1600
	s_waitcnt lgkmcnt(1)
	v_lshrrev_b32_e32 v18, 16, v0
	s_waitcnt lgkmcnt(0)
	v_lshrrev_b32_e32 v20, 16, v5
.LBB0_15:
	s_or_b64 exec, exec, s[2:3]
	s_movk_i32 s2, 0x4f
	v_mul_lo_u16_sdwa v21, v19, s2 dst_sel:DWORD dst_unused:UNUSED_PAD src0_sel:BYTE_0 src1_sel:DWORD
	v_lshrrev_b16_e32 v21, 10, v21
	v_mul_lo_u16_e32 v31, 13, v21
	v_sub_u16_e32 v32, v19, v31
	v_mul_lo_u16_sdwa v31, v13, s2 dst_sel:DWORD dst_unused:UNUSED_PAD src0_sel:BYTE_0 src1_sel:DWORD
	v_lshrrev_b16_e32 v33, 10, v31
	v_mul_lo_u16_e32 v31, 13, v33
	v_sub_u16_e32 v13, v13, v31
	;; [unrolled: 4-line block ×6, first 2 shown]
	v_mov_b32_e32 v38, 2
	v_mul_lo_u16_sdwa v44, v12, s2 dst_sel:DWORD dst_unused:UNUSED_PAD src0_sel:BYTE_0 src1_sel:DWORD
	v_lshlrev_b32_sdwa v31, v38, v17 dst_sel:DWORD dst_unused:UNUSED_PAD src0_sel:DWORD src1_sel:BYTE_0
	v_lshlrev_b32_sdwa v14, v38, v14 dst_sel:DWORD dst_unused:UNUSED_PAD src0_sel:DWORD src1_sel:BYTE_0
	v_lshrrev_b16_e32 v44, 10, v44
	v_lshlrev_b32_sdwa v17, v38, v32 dst_sel:DWORD dst_unused:UNUSED_PAD src0_sel:DWORD src1_sel:BYTE_0
	v_lshlrev_b32_sdwa v32, v38, v15 dst_sel:DWORD dst_unused:UNUSED_PAD src0_sel:DWORD src1_sel:BYTE_0
	;; [unrolled: 1-line block ×3, first 2 shown]
	global_load_dword v15, v31, s[12:13]
	global_load_dword v39, v17, s[12:13]
	;; [unrolled: 1-line block ×4, first 2 shown]
	v_lshlrev_b32_sdwa v13, v38, v13 dst_sel:DWORD dst_unused:UNUSED_PAD src0_sel:DWORD src1_sel:BYTE_0
	global_load_dword v42, v14, s[12:13]
	global_load_dword v43, v13, s[12:13]
	v_mul_lo_u16_e32 v45, 13, v44
	v_sub_u16_e32 v12, v12, v45
	v_lshlrev_b32_sdwa v12, v38, v12 dst_sel:DWORD dst_unused:UNUSED_PAD src0_sel:DWORD src1_sel:BYTE_0
	global_load_dword v38, v12, s[12:13]
	s_movk_i32 s7, 0x68
	v_mad_u32_u24 v21, v21, s7, 0
	v_mad_u32_u24 v44, v44, s7, 0
	;; [unrolled: 1-line block ×4, first 2 shown]
	v_add3_u32 v45, v21, v17, v24
	v_add3_u32 v44, v44, v12, v24
	;; [unrolled: 1-line block ×4, first 2 shown]
	s_waitcnt lgkmcnt(0)
	; wave barrier
	s_waitcnt vmcnt(6) lgkmcnt(0)
	v_mul_f16_sdwa v12, v20, v15 dst_sel:DWORD dst_unused:UNUSED_PAD src0_sel:DWORD src1_sel:WORD_1
	v_mul_f16_sdwa v13, v5, v15 dst_sel:DWORD dst_unused:UNUSED_PAD src0_sel:DWORD src1_sel:WORD_1
	s_waitcnt vmcnt(5)
	v_pk_mul_f16 v14, v39, v6 op_sel:[0,1]
	s_waitcnt vmcnt(3)
	v_pk_mul_f16 v21, v41, v11 op_sel:[0,1]
	v_fma_f16 v5, v5, v15, v12
	s_waitcnt vmcnt(1)
	v_pk_mul_f16 v47, v43, v8 op_sel:[0,1]
	v_fma_f16 v12, v20, v15, -v13
	v_pk_fma_f16 v13, v39, v6, v14 op_sel:[0,0,1] op_sel_hi:[1,0,0] neg_lo:[1,0,0] neg_hi:[1,0,0]
	v_pk_fma_f16 v6, v39, v6, v14 op_sel:[0,0,1] op_sel_hi:[1,0,0]
	v_pk_fma_f16 v15, v41, v11, v21 op_sel:[0,0,1] op_sel_hi:[1,0,0] neg_lo:[1,0,0] neg_hi:[1,0,0]
	v_pk_fma_f16 v11, v41, v11, v21 op_sel:[0,0,1] op_sel_hi:[1,0,0]
	v_pk_fma_f16 v20, v43, v8, v47 op_sel:[0,0,1] op_sel_hi:[1,1,0]
	v_pk_fma_f16 v8, v43, v8, v47 op_sel:[0,0,1] op_sel_hi:[1,0,0] neg_lo:[1,0,0] neg_hi:[1,0,0]
	v_bfi_b32 v6, s6, v6, v13
	v_bfi_b32 v13, s6, v11, v15
	;; [unrolled: 1-line block ×3, first 2 shown]
	v_sub_f16_e32 v15, v0, v5
	v_sub_f16_e32 v21, v18, v12
	v_pk_add_f16 v5, v30, v13 neg_lo:[0,1] neg_hi:[0,1]
	v_pk_add_f16 v13, v26, v8 neg_lo:[0,1] neg_hi:[0,1]
	s_waitcnt vmcnt(0)
	v_pk_mul_f16 v12, v38, v7 op_sel:[0,1]
	v_pk_mul_f16 v17, v40, v10 op_sel:[0,1]
	v_pk_fma_f16 v8, v26, 2.0, v13 op_sel_hi:[1,0,1] neg_lo:[0,0,1] neg_hi:[0,0,1]
	v_pk_fma_f16 v26, v38, v7, v12 op_sel:[0,0,1] op_sel_hi:[1,1,0]
	v_pk_fma_f16 v7, v38, v7, v12 op_sel:[0,0,1] op_sel_hi:[1,0,0] neg_lo:[1,0,0] neg_hi:[1,0,0]
	v_pk_mul_f16 v46, v42, v9 op_sel:[0,1]
	v_pk_fma_f16 v14, v40, v10, v17 op_sel:[0,0,1] op_sel_hi:[1,0,0] neg_lo:[1,0,0] neg_hi:[1,0,0]
	v_pk_fma_f16 v10, v40, v10, v17 op_sel:[0,0,1] op_sel_hi:[1,0,0]
	v_bfi_b32 v7, s6, v26, v7
	v_pk_fma_f16 v17, v42, v9, v46 op_sel:[0,0,1] op_sel_hi:[1,1,0]
	v_pk_fma_f16 v9, v42, v9, v46 op_sel:[0,0,1] op_sel_hi:[1,0,0] neg_lo:[1,0,0] neg_hi:[1,0,0]
	v_bfi_b32 v10, s6, v10, v14
	v_pk_add_f16 v7, v25, v7 neg_lo:[0,1] neg_hi:[0,1]
	v_bfi_b32 v9, s6, v17, v9
	v_pk_add_f16 v11, v27, v6 neg_lo:[0,1] neg_hi:[0,1]
	v_pk_add_f16 v17, v29, v10 neg_lo:[0,1] neg_hi:[0,1]
	v_pk_fma_f16 v12, v25, 2.0, v7 op_sel_hi:[1,0,1] neg_lo:[0,0,1] neg_hi:[0,0,1]
	v_mad_u32_u24 v25, v35, s7, 0
	v_fma_f16 v6, v0, 2.0, -v15
	v_pk_add_f16 v9, v28, v9 neg_lo:[0,1] neg_hi:[0,1]
	v_pk_fma_f16 v0, v27, 2.0, v11 op_sel_hi:[1,0,1] neg_lo:[0,0,1] neg_hi:[0,0,1]
	v_pk_fma_f16 v10, v29, 2.0, v17 op_sel_hi:[1,0,1] neg_lo:[0,0,1] neg_hi:[0,0,1]
	v_add3_u32 v25, v25, v32, v24
	v_pk_fma_f16 v14, v28, 2.0, v9 op_sel_hi:[1,0,1] neg_lo:[0,0,1] neg_hi:[0,0,1]
	ds_write2_b32 v45, v0, v11 offset1:13
	ds_write2_b32 v44, v12, v7 offset1:13
	;; [unrolled: 1-line block ×5, first 2 shown]
	v_mad_u32_u24 v25, v36, s7, 0
	v_fma_f16 v20, v18, 2.0, -v21
	v_pk_fma_f16 v18, v30, 2.0, v5 op_sel_hi:[1,0,1] neg_lo:[0,0,1] neg_hi:[0,0,1]
	v_add3_u32 v25, v25, v37, v24
	ds_write2_b32 v25, v18, v5 offset1:13
	s_and_saveexec_b64 s[2:3], s[0:1]
	s_cbranch_execz .LBB0_17
; %bb.16:
	v_mad_u32_u24 v16, v16, s7, 0
	s_mov_b32 s0, 0x5040100
	v_add3_u32 v16, v16, v31, v24
	v_perm_b32 v24, v20, v6, s0
	v_perm_b32 v25, v21, v15, s0
	ds_write2_b32 v16, v24, v25 offset1:13
.LBB0_17:
	s_or_b64 exec, exec, s[2:3]
	v_cmp_gt_u32_e64 s[0:1], 26, v19
	v_lshrrev_b32_e32 v25, 16, v11
	v_lshrrev_b32_e32 v28, 16, v14
	;; [unrolled: 1-line block ×7, first 2 shown]
	s_waitcnt lgkmcnt(0)
	; wave barrier
	s_waitcnt lgkmcnt(0)
                                        ; implicit-def: $vgpr27
                                        ; implicit-def: $vgpr31
                                        ; implicit-def: $vgpr30
	s_and_saveexec_b64 s[2:3], s[0:1]
	s_cbranch_execz .LBB0_19
; %bb.18:
	ds_read2_b32 v[11:12], v22 offset0:26 offset1:52
	ds_read2_b32 v[7:8], v22 offset0:78 offset1:104
	ds_read2_b32 v[13:14], v22 offset0:130 offset1:156
	ds_read2_b32 v[9:10], v22 offset0:182 offset1:208
	v_add_u32_e32 v17, 0x200, v22
	v_add_u32_e32 v0, 0x400, v22
	ds_read2_b32 v[5:6], v0 offset0:30 offset1:56
	ds_read2_b32 v[15:16], v0 offset0:82 offset1:108
	ds_read_b32 v0, v23
	ds_read_b32 v30, v22 offset:1560
	ds_read2_b32 v[17:18], v17 offset0:106 offset1:132
	s_waitcnt lgkmcnt(4)
	v_lshrrev_b32_e32 v20, 16, v6
	s_waitcnt lgkmcnt(3)
	v_lshrrev_b32_e32 v21, 16, v15
	v_lshrrev_b32_e32 v27, 16, v16
	s_waitcnt lgkmcnt(1)
	v_lshrrev_b32_e32 v31, 16, v30
	v_lshrrev_b32_e32 v25, 16, v11
	;; [unrolled: 1-line block ×8, first 2 shown]
.LBB0_19:
	s_or_b64 exec, exec, s[2:3]
	v_cmp_gt_u32_e64 s[2:3], 26, v19
	s_and_b64 s[2:3], vcc, s[2:3]
	s_and_saveexec_b64 s[6:7], s[2:3]
	s_cbranch_execz .LBB0_21
; %bb.20:
	v_subrev_u32_e32 v22, 26, v19
	v_cndmask_b32_e64 v22, v22, v19, s[0:1]
	v_mul_i32_i24_e32 v22, 15, v22
	v_mov_b32_e32 v23, 0
	v_lshlrev_b64 v[22:23], 2, v[22:23]
	v_mov_b32_e32 v34, s13
	v_add_co_u32_e32 v22, vcc, s12, v22
	v_addc_co_u32_e32 v23, vcc, v34, v23, vcc
	global_load_dwordx4 v[34:37], v[22:23], off offset:52
	global_load_dwordx4 v[38:41], v[22:23], off offset:84
	;; [unrolled: 1-line block ×3, first 2 shown]
	global_load_dwordx3 v[46:48], v[22:23], off offset:100
	v_mul_lo_u32 v22, s5, v3
	v_mul_lo_u32 v23, s4, v4
	v_mad_u64_u32 v[3:4], s[0:1], s4, v3, 0
	v_lshrrev_b32_e32 v50, 16, v5
	v_lshrrev_b32_e32 v51, 16, v10
	v_add3_u32 v4, v4, v23, v22
	s_waitcnt lgkmcnt(0)
	v_lshrrev_b32_e32 v49, 16, v17
	v_lshrrev_b32_e32 v52, 16, v18
	s_movk_i32 s0, 0x39a8
	s_mov_b32 s1, 0xb9a8
	s_mov_b32 s2, 0xb61f
	;; [unrolled: 1-line block ×3, first 2 shown]
	s_movk_i32 s5, 0x361f
	v_lshlrev_b64 v[3:4], 2, v[3:4]
	s_movk_i32 s3, 0x3b64
	s_waitcnt vmcnt(3)
	v_mul_f16_sdwa v22, v11, v34 dst_sel:DWORD dst_unused:UNUSED_PAD src0_sel:DWORD src1_sel:WORD_1
	v_mul_f16_sdwa v55, v7, v36 dst_sel:DWORD dst_unused:UNUSED_PAD src0_sel:DWORD src1_sel:WORD_1
	s_waitcnt vmcnt(2)
	v_mul_f16_sdwa v56, v5, v40 dst_sel:DWORD dst_unused:UNUSED_PAD src0_sel:DWORD src1_sel:WORD_1
	s_waitcnt vmcnt(1)
	v_mul_f16_sdwa v57, v32, v44 dst_sel:DWORD dst_unused:UNUSED_PAD src0_sel:DWORD src1_sel:WORD_1
	v_mul_f16_sdwa v59, v33, v36 dst_sel:DWORD dst_unused:UNUSED_PAD src0_sel:DWORD src1_sel:WORD_1
	;; [unrolled: 1-line block ×7, first 2 shown]
	v_fma_f16 v22, v25, v34, -v22
	v_mul_f16_sdwa v25, v25, v34 dst_sel:DWORD dst_unused:UNUSED_PAD src0_sel:DWORD src1_sel:WORD_1
	v_mul_f16_sdwa v23, v17, v38 dst_sel:DWORD dst_unused:UNUSED_PAD src0_sel:DWORD src1_sel:WORD_1
	;; [unrolled: 1-line block ×3, first 2 shown]
	s_waitcnt vmcnt(0)
	v_mul_f16_sdwa v54, v21, v46 dst_sel:DWORD dst_unused:UNUSED_PAD src0_sel:DWORD src1_sel:WORD_1
	v_mul_f16_sdwa v58, v31, v48 dst_sel:DWORD dst_unused:UNUSED_PAD src0_sel:DWORD src1_sel:WORD_1
	;; [unrolled: 1-line block ×7, first 2 shown]
	v_fma_f16 v33, v33, v36, -v55
	v_fma_f16 v50, v50, v40, -v56
	v_fma_f16 v9, v9, v44, v57
	v_fma_f16 v7, v7, v36, v59
	v_fma_f16 v5, v5, v40, v60
	v_fma_f16 v32, v32, v44, -v61
	v_fma_f16 v36, v10, v45, v63
	v_fma_f16 v40, v24, v37, -v64
	v_fma_f16 v44, v20, v41, -v65
	v_fma_f16 v11, v11, v34, v25
	v_mul_f16_sdwa v25, v49, v38 dst_sel:DWORD dst_unused:UNUSED_PAD src0_sel:DWORD src1_sel:WORD_1
	v_mul_f16_sdwa v10, v10, v45 dst_sel:DWORD dst_unused:UNUSED_PAD src0_sel:DWORD src1_sel:WORD_1
	;; [unrolled: 1-line block ×8, first 2 shown]
	v_fma_f16 v23, v49, v38, -v23
	v_fma_f16 v53, v13, v42, v53
	v_fma_f16 v54, v15, v46, v54
	;; [unrolled: 1-line block ×3, first 2 shown]
	v_fma_f16 v31, v31, v48, -v62
	v_fma_f16 v29, v29, v35, -v66
	;; [unrolled: 1-line block ×3, first 2 shown]
	v_fma_f16 v14, v14, v43, v68
	v_fma_f16 v16, v16, v47, v69
	;; [unrolled: 1-line block ×3, first 2 shown]
	v_mul_f16_sdwa v13, v13, v42 dst_sel:DWORD dst_unused:UNUSED_PAD src0_sel:DWORD src1_sel:WORD_1
	v_mul_f16_sdwa v15, v15, v46 dst_sel:DWORD dst_unused:UNUSED_PAD src0_sel:DWORD src1_sel:WORD_1
	v_fma_f16 v10, v51, v45, -v10
	v_lshrrev_b32_e32 v38, 16, v0
	v_fma_f16 v8, v8, v37, v24
	v_fma_f16 v6, v6, v41, v20
	;; [unrolled: 1-line block ×4, first 2 shown]
	v_fma_f16 v28, v28, v43, -v72
	v_fma_f16 v27, v27, v47, -v73
	v_sub_f16_e32 v23, v22, v23
	v_sub_f16_e32 v35, v53, v54
	;; [unrolled: 1-line block ×7, first 2 shown]
	v_fma_f16 v13, v26, v42, -v13
	v_fma_f16 v15, v21, v46, -v15
	v_sub_f16_e32 v10, v38, v10
	v_sub_f16_e32 v6, v8, v6
	;; [unrolled: 1-line block ×13, first 2 shown]
	v_add_f16_e32 v50, v5, v31
	v_add_f16_e32 v52, v36, v43
	v_add_f16_e32 v55, v18, v27
	v_fma_f16 v56, v48, s0, v47
	v_add_f16_e32 v21, v17, v15
	v_fma_f16 v24, v54, s0, v20
	v_fma_f16 v57, v55, s0, v52
	;; [unrolled: 1-line block ×5, first 2 shown]
	v_fma_f16 v58, v47, 2.0, -v56
	v_fma_f16 v57, v54, s0, v57
	v_fma_f16 v25, v48, s0, v25
	v_fma_f16 v37, v20, 2.0, -v24
	v_fma_f16 v46, v5, 2.0, -v50
	;; [unrolled: 1-line block ×15, first 2 shown]
	v_fma_f16 v41, v58, s2, v37
	v_fma_f16 v21, v17, 2.0, -v21
	v_sub_f16_e32 v13, v22, v13
	v_sub_f16_e32 v7, v5, v7
	v_fma_f16 v0, v0, 2.0, -v36
	v_fma_f16 v6, v8, 2.0, -v6
	;; [unrolled: 1-line block ×6, first 2 shown]
	v_sub_f16_e32 v31, v10, v31
	v_sub_f16_e32 v14, v12, v14
	v_fma_f16 v34, v26, s2, v59
	v_fma_f16 v26, v26, s4, v41
	v_fma_f16 v41, v23, 2.0, -v47
	v_fma_f16 v42, v39, 2.0, -v48
	v_sub_f16_e32 v9, v13, v7
	v_sub_f16_e32 v6, v0, v6
	;; [unrolled: 1-line block ×6, first 2 shown]
	v_fma_f16 v45, v42, s1, v41
	v_fma_f16 v48, v36, 2.0, -v52
	v_fma_f16 v49, v18, 2.0, -v55
	v_add_f16_e32 v23, v6, v15
	v_add_f16_e32 v29, v17, v28
	v_fma_f16 v18, v9, s0, v16
	v_fma_f16 v45, v46, s1, v45
	v_fma_f16 v47, v44, 2.0, -v54
	v_fma_f16 v50, v49, s1, v48
	v_fma_f16 v46, v46, s1, v21
	;; [unrolled: 1-line block ×4, first 2 shown]
	v_fma_f16 v35, v6, 2.0, -v23
	v_fma_f16 v29, v17, 2.0, -v29
	v_fma_f16 v50, v47, s0, v50
	v_fma_f16 v42, v42, s0, v46
	;; [unrolled: 1-line block ×3, first 2 shown]
	v_fma_f16 v9, v13, 2.0, -v9
	v_fma_f16 v36, v29, s1, v35
	v_fma_f16 v36, v9, s0, v36
	v_fma_f16 v38, v31, 2.0, -v16
	v_fma_f16 v5, v5, 2.0, -v7
	;; [unrolled: 1-line block ×4, first 2 shown]
	v_fma_f16 v47, v47, s1, v20
	v_fma_f16 v9, v9, s1, v38
	v_fma_f16 v0, v0, 2.0, -v6
	v_fma_f16 v6, v12, 2.0, -v14
	;; [unrolled: 1-line block ×8, first 2 shown]
	v_fma_f16 v35, v21, s4, v7
	v_fma_f16 v47, v49, s1, v47
	;; [unrolled: 1-line block ×3, first 2 shown]
	v_sub_f16_e32 v6, v0, v6
	v_sub_f16_e32 v13, v12, v13
	v_fma_f16 v8, v8, 2.0, -v15
	v_fma_f16 v35, v31, s5, v35
	v_add_f16_e32 v14, v13, v6
	v_sub_f16_e32 v8, v10, v8
	v_sub_f16_e32 v5, v11, v5
	v_fma_f16 v22, v38, 2.0, -v9
	v_fma_f16 v38, v7, 2.0, -v35
	;; [unrolled: 1-line block ×3, first 2 shown]
	v_sub_f16_e32 v15, v8, v5
	v_fma_f16 v27, v6, 2.0, -v14
	v_fma_f16 v20, v31, s4, v7
	v_fma_f16 v31, v0, 2.0, -v6
	v_fma_f16 v0, v11, 2.0, -v5
	v_mad_u64_u32 v[5:6], s[0:1], s20, v19, 0
	v_fma_f16 v28, v8, 2.0, -v15
	v_sub_f16_e32 v11, v31, v0
	v_fma_f16 v8, v10, 2.0, -v8
	v_fma_f16 v0, v12, 2.0, -v13
	v_fma_f16 v20, v21, s2, v20
	v_sub_f16_e32 v10, v8, v0
	v_mov_b32_e32 v0, v6
	v_fma_f16 v21, v7, 2.0, -v20
	v_mad_u64_u32 v[6:7], s[0:1], s21, v19, v[0:1]
	v_fma_f16 v12, v23, 2.0, -v30
	v_fma_f16 v7, v16, 2.0, -v18
	v_mov_b32_e32 v0, s11
	v_add_co_u32_e32 v16, vcc, s10, v3
	v_add_u32_e32 v23, 26, v19
	v_addc_co_u32_e32 v4, vcc, v0, v4, vcc
	v_lshlrev_b64 v[0:1], 2, v[1:2]
	v_mad_u64_u32 v[2:3], s[0:1], s20, v23, 0
	v_add_co_u32_e32 v16, vcc, v16, v0
	v_fma_f16 v13, v31, 2.0, -v11
	v_addc_co_u32_e32 v31, vcc, v4, v1, vcc
	v_lshlrev_b64 v[0:1], 2, v[5:6]
	v_mad_u64_u32 v[3:4], s[0:1], s21, v23, v[3:4]
	v_fma_f16 v8, v8, 2.0, -v10
	v_add_co_u32_e32 v0, vcc, v16, v0
	v_addc_co_u32_e32 v1, vcc, v31, v1, vcc
	v_pack_b32_f16 v4, v13, v8
	global_store_dword v[0:1], v4, off
	v_add_u32_e32 v4, 52, v19
	v_lshlrev_b64 v[0:1], 2, v[2:3]
	v_mad_u64_u32 v[2:3], s[0:1], s20, v4, 0
	v_add_u32_e32 v8, 0x4e, v19
	v_add_co_u32_e32 v0, vcc, v16, v0
	v_mad_u64_u32 v[3:4], s[0:1], s21, v4, v[3:4]
	v_mad_u64_u32 v[4:5], s[0:1], s20, v8, 0
	v_addc_co_u32_e32 v1, vcc, v31, v1, vcc
	v_pack_b32_f16 v6, v38, v21
	global_store_dword v[0:1], v6, off
	v_lshlrev_b64 v[0:1], 2, v[2:3]
	v_mov_b32_e32 v2, v5
	v_mad_u64_u32 v[2:3], s[0:1], s21, v8, v[2:3]
	v_add_co_u32_e32 v0, vcc, v16, v0
	v_addc_co_u32_e32 v1, vcc, v31, v1, vcc
	v_pack_b32_f16 v3, v17, v22
	v_mov_b32_e32 v5, v2
	global_store_dword v[0:1], v3, off
	v_lshlrev_b64 v[0:1], 2, v[4:5]
	v_add_u32_e32 v4, 0x68, v19
	v_mad_u64_u32 v[2:3], s[0:1], s20, v4, 0
	v_add_u32_e32 v8, 0x82, v19
	v_fma_f16 v34, v58, s3, v34
	v_mad_u64_u32 v[3:4], s[0:1], s21, v4, v[3:4]
	v_mad_u64_u32 v[4:5], s[0:1], s20, v8, 0
	v_fma_f16 v29, v59, 2.0, -v34
	v_fma_f16 v37, v37, 2.0, -v26
	v_add_co_u32_e32 v0, vcc, v16, v0
	v_addc_co_u32_e32 v1, vcc, v31, v1, vcc
	v_pack_b32_f16 v6, v29, v37
	global_store_dword v[0:1], v6, off
	v_lshlrev_b64 v[0:1], 2, v[2:3]
	v_mov_b32_e32 v2, v5
	v_mad_u64_u32 v[2:3], s[0:1], s21, v8, v[2:3]
	v_add_co_u32_e32 v0, vcc, v16, v0
	v_addc_co_u32_e32 v1, vcc, v31, v1, vcc
	v_pack_b32_f16 v3, v27, v28
	v_mov_b32_e32 v5, v2
	global_store_dword v[0:1], v3, off
	v_lshlrev_b64 v[0:1], 2, v[4:5]
	v_add_u32_e32 v4, 0x9c, v19
	v_mad_u64_u32 v[2:3], s[0:1], s20, v4, 0
	v_add_u32_e32 v8, 0xb6, v19
	v_fma_f16 v46, v42, s5, v50
	v_mad_u64_u32 v[3:4], s[0:1], s21, v4, v[3:4]
	v_fma_f16 v49, v45, s5, v47
	v_mad_u64_u32 v[4:5], s[0:1], s20, v8, 0
	v_fma_f16 v46, v45, s3, v46
	v_fma_f16 v49, v42, s4, v49
	v_fma_f16 v32, v50, 2.0, -v46
	v_fma_f16 v33, v47, 2.0, -v49
	v_add_co_u32_e32 v0, vcc, v16, v0
	v_addc_co_u32_e32 v1, vcc, v31, v1, vcc
	v_pack_b32_f16 v6, v32, v33
	global_store_dword v[0:1], v6, off
	v_lshlrev_b64 v[0:1], 2, v[2:3]
	v_mov_b32_e32 v2, v5
	v_mad_u64_u32 v[2:3], s[0:1], s21, v8, v[2:3]
	v_add_co_u32_e32 v0, vcc, v16, v0
	v_addc_co_u32_e32 v1, vcc, v31, v1, vcc
	v_pack_b32_f16 v3, v12, v7
	v_mov_b32_e32 v5, v2
	global_store_dword v[0:1], v3, off
	v_lshlrev_b64 v[0:1], 2, v[4:5]
	v_add_u32_e32 v4, 0xd0, v19
	v_mad_u64_u32 v[2:3], s[0:1], s20, v4, 0
	v_add_u32_e32 v7, 0xea, v19
	v_fma_f16 v51, v25, s3, v57
	v_mad_u64_u32 v[3:4], s[0:1], s21, v4, v[3:4]
	v_fma_f16 v54, v56, s3, v24
	v_mad_u64_u32 v[4:5], s[0:1], s20, v7, 0
	v_fma_f16 v51, v56, s5, v51
	v_fma_f16 v25, v25, s2, v54
	v_fma_f16 v52, v57, 2.0, -v51
	v_fma_f16 v24, v24, 2.0, -v25
	v_add_co_u32_e32 v0, vcc, v16, v0
	v_addc_co_u32_e32 v1, vcc, v31, v1, vcc
	v_pack_b32_f16 v6, v52, v24
	global_store_dword v[0:1], v6, off
	v_lshlrev_b64 v[0:1], 2, v[2:3]
	v_mov_b32_e32 v2, v5
	v_mad_u64_u32 v[2:3], s[0:1], s21, v7, v[2:3]
	v_add_co_u32_e32 v0, vcc, v16, v0
	v_addc_co_u32_e32 v1, vcc, v31, v1, vcc
	v_pack_b32_f16 v3, v11, v10
	v_mov_b32_e32 v5, v2
	global_store_dword v[0:1], v3, off
	v_lshlrev_b64 v[0:1], 2, v[4:5]
	v_add_u32_e32 v4, 0x104, v19
	v_mad_u64_u32 v[2:3], s[0:1], s20, v4, 0
	v_add_u32_e32 v7, 0x11e, v19
	v_add_co_u32_e32 v0, vcc, v16, v0
	v_mad_u64_u32 v[3:4], s[0:1], s21, v4, v[3:4]
	v_mad_u64_u32 v[4:5], s[0:1], s20, v7, 0
	v_addc_co_u32_e32 v1, vcc, v31, v1, vcc
	v_pack_b32_f16 v6, v35, v20
	global_store_dword v[0:1], v6, off
	v_lshlrev_b64 v[0:1], 2, v[2:3]
	v_mov_b32_e32 v2, v5
	v_mad_u64_u32 v[2:3], s[0:1], s21, v7, v[2:3]
	v_add_co_u32_e32 v0, vcc, v16, v0
	v_addc_co_u32_e32 v1, vcc, v31, v1, vcc
	v_pack_b32_f16 v3, v36, v9
	v_mov_b32_e32 v5, v2
	global_store_dword v[0:1], v3, off
	v_lshlrev_b64 v[0:1], 2, v[4:5]
	v_add_u32_e32 v4, 0x138, v19
	v_mad_u64_u32 v[2:3], s[0:1], s20, v4, 0
	v_add_u32_e32 v7, 0x152, v19
	v_add_co_u32_e32 v0, vcc, v16, v0
	v_mad_u64_u32 v[3:4], s[0:1], s21, v4, v[3:4]
	v_mad_u64_u32 v[4:5], s[0:1], s20, v7, 0
	;; [unrolled: 18-line block ×3, first 2 shown]
	v_addc_co_u32_e32 v1, vcc, v31, v1, vcc
	v_pack_b32_f16 v6, v46, v49
	global_store_dword v[0:1], v6, off
	v_lshlrev_b64 v[0:1], 2, v[2:3]
	v_mov_b32_e32 v2, v5
	v_mad_u64_u32 v[2:3], s[0:1], s21, v7, v[2:3]
	v_add_co_u32_e32 v0, vcc, v16, v0
	v_addc_co_u32_e32 v1, vcc, v31, v1, vcc
	v_pack_b32_f16 v3, v30, v18
	v_mov_b32_e32 v5, v2
	global_store_dword v[0:1], v3, off
	v_lshlrev_b64 v[0:1], 2, v[4:5]
	v_pack_b32_f16 v2, v51, v25
	v_add_co_u32_e32 v0, vcc, v16, v0
	v_addc_co_u32_e32 v1, vcc, v31, v1, vcc
	global_store_dword v[0:1], v2, off
.LBB0_21:
	s_endpgm
	.section	.rodata,"a",@progbits
	.p2align	6, 0x0
	.amdhsa_kernel fft_rtc_back_len416_factors_13_2_16_wgs_64_tpt_32_half_op_CI_CI_sbrr_dirReg
		.amdhsa_group_segment_fixed_size 0
		.amdhsa_private_segment_fixed_size 0
		.amdhsa_kernarg_size 104
		.amdhsa_user_sgpr_count 6
		.amdhsa_user_sgpr_private_segment_buffer 1
		.amdhsa_user_sgpr_dispatch_ptr 0
		.amdhsa_user_sgpr_queue_ptr 0
		.amdhsa_user_sgpr_kernarg_segment_ptr 1
		.amdhsa_user_sgpr_dispatch_id 0
		.amdhsa_user_sgpr_flat_scratch_init 0
		.amdhsa_user_sgpr_private_segment_size 0
		.amdhsa_uses_dynamic_stack 0
		.amdhsa_system_sgpr_private_segment_wavefront_offset 0
		.amdhsa_system_sgpr_workgroup_id_x 1
		.amdhsa_system_sgpr_workgroup_id_y 0
		.amdhsa_system_sgpr_workgroup_id_z 0
		.amdhsa_system_sgpr_workgroup_info 0
		.amdhsa_system_vgpr_workitem_id 0
		.amdhsa_next_free_vgpr 98
		.amdhsa_next_free_sgpr 32
		.amdhsa_reserve_vcc 1
		.amdhsa_reserve_flat_scratch 0
		.amdhsa_float_round_mode_32 0
		.amdhsa_float_round_mode_16_64 0
		.amdhsa_float_denorm_mode_32 3
		.amdhsa_float_denorm_mode_16_64 3
		.amdhsa_dx10_clamp 1
		.amdhsa_ieee_mode 1
		.amdhsa_fp16_overflow 0
		.amdhsa_exception_fp_ieee_invalid_op 0
		.amdhsa_exception_fp_denorm_src 0
		.amdhsa_exception_fp_ieee_div_zero 0
		.amdhsa_exception_fp_ieee_overflow 0
		.amdhsa_exception_fp_ieee_underflow 0
		.amdhsa_exception_fp_ieee_inexact 0
		.amdhsa_exception_int_div_zero 0
	.end_amdhsa_kernel
	.text
.Lfunc_end0:
	.size	fft_rtc_back_len416_factors_13_2_16_wgs_64_tpt_32_half_op_CI_CI_sbrr_dirReg, .Lfunc_end0-fft_rtc_back_len416_factors_13_2_16_wgs_64_tpt_32_half_op_CI_CI_sbrr_dirReg
                                        ; -- End function
	.section	.AMDGPU.csdata,"",@progbits
; Kernel info:
; codeLenInByte = 8788
; NumSgprs: 36
; NumVgprs: 98
; ScratchSize: 0
; MemoryBound: 0
; FloatMode: 240
; IeeeMode: 1
; LDSByteSize: 0 bytes/workgroup (compile time only)
; SGPRBlocks: 4
; VGPRBlocks: 24
; NumSGPRsForWavesPerEU: 36
; NumVGPRsForWavesPerEU: 98
; Occupancy: 2
; WaveLimiterHint : 1
; COMPUTE_PGM_RSRC2:SCRATCH_EN: 0
; COMPUTE_PGM_RSRC2:USER_SGPR: 6
; COMPUTE_PGM_RSRC2:TRAP_HANDLER: 0
; COMPUTE_PGM_RSRC2:TGID_X_EN: 1
; COMPUTE_PGM_RSRC2:TGID_Y_EN: 0
; COMPUTE_PGM_RSRC2:TGID_Z_EN: 0
; COMPUTE_PGM_RSRC2:TIDIG_COMP_CNT: 0
	.type	__hip_cuid_c5ccdcff6e71f6f3,@object ; @__hip_cuid_c5ccdcff6e71f6f3
	.section	.bss,"aw",@nobits
	.globl	__hip_cuid_c5ccdcff6e71f6f3
__hip_cuid_c5ccdcff6e71f6f3:
	.byte	0                               ; 0x0
	.size	__hip_cuid_c5ccdcff6e71f6f3, 1

	.ident	"AMD clang version 19.0.0git (https://github.com/RadeonOpenCompute/llvm-project roc-6.4.0 25133 c7fe45cf4b819c5991fe208aaa96edf142730f1d)"
	.section	".note.GNU-stack","",@progbits
	.addrsig
	.addrsig_sym __hip_cuid_c5ccdcff6e71f6f3
	.amdgpu_metadata
---
amdhsa.kernels:
  - .args:
      - .actual_access:  read_only
        .address_space:  global
        .offset:         0
        .size:           8
        .value_kind:     global_buffer
      - .offset:         8
        .size:           8
        .value_kind:     by_value
      - .actual_access:  read_only
        .address_space:  global
        .offset:         16
        .size:           8
        .value_kind:     global_buffer
      - .actual_access:  read_only
        .address_space:  global
        .offset:         24
        .size:           8
        .value_kind:     global_buffer
      - .actual_access:  read_only
        .address_space:  global
        .offset:         32
        .size:           8
        .value_kind:     global_buffer
      - .offset:         40
        .size:           8
        .value_kind:     by_value
      - .actual_access:  read_only
        .address_space:  global
        .offset:         48
        .size:           8
        .value_kind:     global_buffer
      - .actual_access:  read_only
        .address_space:  global
        .offset:         56
        .size:           8
        .value_kind:     global_buffer
      - .offset:         64
        .size:           4
        .value_kind:     by_value
      - .actual_access:  read_only
        .address_space:  global
        .offset:         72
        .size:           8
        .value_kind:     global_buffer
      - .actual_access:  read_only
        .address_space:  global
        .offset:         80
        .size:           8
        .value_kind:     global_buffer
      - .actual_access:  read_only
        .address_space:  global
        .offset:         88
        .size:           8
        .value_kind:     global_buffer
      - .actual_access:  write_only
        .address_space:  global
        .offset:         96
        .size:           8
        .value_kind:     global_buffer
    .group_segment_fixed_size: 0
    .kernarg_segment_align: 8
    .kernarg_segment_size: 104
    .language:       OpenCL C
    .language_version:
      - 2
      - 0
    .max_flat_workgroup_size: 64
    .name:           fft_rtc_back_len416_factors_13_2_16_wgs_64_tpt_32_half_op_CI_CI_sbrr_dirReg
    .private_segment_fixed_size: 0
    .sgpr_count:     36
    .sgpr_spill_count: 0
    .symbol:         fft_rtc_back_len416_factors_13_2_16_wgs_64_tpt_32_half_op_CI_CI_sbrr_dirReg.kd
    .uniform_work_group_size: 1
    .uses_dynamic_stack: false
    .vgpr_count:     98
    .vgpr_spill_count: 0
    .wavefront_size: 64
amdhsa.target:   amdgcn-amd-amdhsa--gfx906
amdhsa.version:
  - 1
  - 2
...

	.end_amdgpu_metadata
